;; amdgpu-corpus repo=ROCm/rocFFT kind=compiled arch=gfx1201 opt=O3
	.text
	.amdgcn_target "amdgcn-amd-amdhsa--gfx1201"
	.amdhsa_code_object_version 6
	.protected	fft_rtc_fwd_len616_factors_11_7_8_wgs_88_tpt_88_sp_op_CI_CI_sbrr_dirReg ; -- Begin function fft_rtc_fwd_len616_factors_11_7_8_wgs_88_tpt_88_sp_op_CI_CI_sbrr_dirReg
	.globl	fft_rtc_fwd_len616_factors_11_7_8_wgs_88_tpt_88_sp_op_CI_CI_sbrr_dirReg
	.p2align	8
	.type	fft_rtc_fwd_len616_factors_11_7_8_wgs_88_tpt_88_sp_op_CI_CI_sbrr_dirReg,@function
fft_rtc_fwd_len616_factors_11_7_8_wgs_88_tpt_88_sp_op_CI_CI_sbrr_dirReg: ; @fft_rtc_fwd_len616_factors_11_7_8_wgs_88_tpt_88_sp_op_CI_CI_sbrr_dirReg
; %bb.0:
	s_clause 0x2
	s_load_b128 s[12:15], s[0:1], 0x18
	s_load_b128 s[8:11], s[0:1], 0x0
	;; [unrolled: 1-line block ×3, first 2 shown]
	v_mul_u32_u24_e32 v1, 0x2e9, v0
	v_mov_b32_e32 v4, 0
	v_mov_b32_e32 v2, 0
	;; [unrolled: 1-line block ×3, first 2 shown]
	s_wait_kmcnt 0x0
	s_load_b64 s[18:19], s[12:13], 0x0
	s_load_b64 s[16:17], s[14:15], 0x0
	v_lshrrev_b32_e32 v1, 16, v1
	v_cmp_lt_u64_e64 s2, s[10:11], 2
	s_delay_alu instid0(VALU_DEP_2) | instskip(NEXT) | instid1(VALU_DEP_2)
	v_dual_mov_b32 v7, v4 :: v_dual_add_nc_u32 v6, ttmp9, v1
	s_and_b32 vcc_lo, exec_lo, s2
	s_cbranch_vccnz .LBB0_8
; %bb.1:
	s_load_b64 s[2:3], s[0:1], 0x10
	v_mov_b32_e32 v2, 0
	v_mov_b32_e32 v3, 0
	s_add_nc_u64 s[20:21], s[14:15], 8
	s_add_nc_u64 s[22:23], s[12:13], 8
	s_mov_b64 s[24:25], 1
	s_delay_alu instid0(VALU_DEP_1)
	v_dual_mov_b32 v17, v3 :: v_dual_mov_b32 v16, v2
	s_wait_kmcnt 0x0
	s_add_nc_u64 s[26:27], s[2:3], 8
	s_mov_b32 s3, 0
.LBB0_2:                                ; =>This Inner Loop Header: Depth=1
	s_load_b64 s[28:29], s[26:27], 0x0
                                        ; implicit-def: $vgpr18_vgpr19
	s_mov_b32 s2, exec_lo
	s_wait_kmcnt 0x0
	v_or_b32_e32 v5, s29, v7
	s_delay_alu instid0(VALU_DEP_1)
	v_cmpx_ne_u64_e32 0, v[4:5]
	s_wait_alu 0xfffe
	s_xor_b32 s30, exec_lo, s2
	s_cbranch_execz .LBB0_4
; %bb.3:                                ;   in Loop: Header=BB0_2 Depth=1
	s_cvt_f32_u32 s2, s28
	s_cvt_f32_u32 s31, s29
	s_sub_nc_u64 s[36:37], 0, s[28:29]
	s_wait_alu 0xfffe
	s_delay_alu instid0(SALU_CYCLE_1) | instskip(SKIP_1) | instid1(SALU_CYCLE_2)
	s_fmamk_f32 s2, s31, 0x4f800000, s2
	s_wait_alu 0xfffe
	v_s_rcp_f32 s2, s2
	s_delay_alu instid0(TRANS32_DEP_1) | instskip(SKIP_1) | instid1(SALU_CYCLE_2)
	s_mul_f32 s2, s2, 0x5f7ffffc
	s_wait_alu 0xfffe
	s_mul_f32 s31, s2, 0x2f800000
	s_wait_alu 0xfffe
	s_delay_alu instid0(SALU_CYCLE_2) | instskip(SKIP_1) | instid1(SALU_CYCLE_2)
	s_trunc_f32 s31, s31
	s_wait_alu 0xfffe
	s_fmamk_f32 s2, s31, 0xcf800000, s2
	s_cvt_u32_f32 s35, s31
	s_wait_alu 0xfffe
	s_delay_alu instid0(SALU_CYCLE_1) | instskip(SKIP_1) | instid1(SALU_CYCLE_2)
	s_cvt_u32_f32 s34, s2
	s_wait_alu 0xfffe
	s_mul_u64 s[38:39], s[36:37], s[34:35]
	s_wait_alu 0xfffe
	s_mul_hi_u32 s41, s34, s39
	s_mul_i32 s40, s34, s39
	s_mul_hi_u32 s2, s34, s38
	s_mul_i32 s33, s35, s38
	s_wait_alu 0xfffe
	s_add_nc_u64 s[40:41], s[2:3], s[40:41]
	s_mul_hi_u32 s31, s35, s38
	s_mul_hi_u32 s42, s35, s39
	s_add_co_u32 s2, s40, s33
	s_wait_alu 0xfffe
	s_add_co_ci_u32 s2, s41, s31
	s_mul_i32 s38, s35, s39
	s_add_co_ci_u32 s39, s42, 0
	s_wait_alu 0xfffe
	s_add_nc_u64 s[38:39], s[2:3], s[38:39]
	s_wait_alu 0xfffe
	v_add_co_u32 v1, s2, s34, s38
	s_delay_alu instid0(VALU_DEP_1) | instskip(SKIP_1) | instid1(VALU_DEP_1)
	s_cmp_lg_u32 s2, 0
	s_add_co_ci_u32 s35, s35, s39
	v_readfirstlane_b32 s34, v1
	s_wait_alu 0xfffe
	s_delay_alu instid0(VALU_DEP_1)
	s_mul_u64 s[36:37], s[36:37], s[34:35]
	s_wait_alu 0xfffe
	s_mul_hi_u32 s39, s34, s37
	s_mul_i32 s38, s34, s37
	s_mul_hi_u32 s2, s34, s36
	s_mul_i32 s33, s35, s36
	s_wait_alu 0xfffe
	s_add_nc_u64 s[38:39], s[2:3], s[38:39]
	s_mul_hi_u32 s31, s35, s36
	s_mul_hi_u32 s34, s35, s37
	s_wait_alu 0xfffe
	s_add_co_u32 s2, s38, s33
	s_add_co_ci_u32 s2, s39, s31
	s_mul_i32 s36, s35, s37
	s_add_co_ci_u32 s37, s34, 0
	s_wait_alu 0xfffe
	s_add_nc_u64 s[36:37], s[2:3], s[36:37]
	s_wait_alu 0xfffe
	v_add_co_u32 v1, s2, v1, s36
	s_delay_alu instid0(VALU_DEP_1) | instskip(SKIP_1) | instid1(VALU_DEP_1)
	s_cmp_lg_u32 s2, 0
	s_add_co_ci_u32 s2, s35, s37
	v_mul_hi_u32 v5, v6, v1
	s_wait_alu 0xfffe
	v_mad_co_u64_u32 v[8:9], null, v6, s2, 0
	v_mad_co_u64_u32 v[10:11], null, v7, v1, 0
	;; [unrolled: 1-line block ×3, first 2 shown]
	s_delay_alu instid0(VALU_DEP_3) | instskip(SKIP_1) | instid1(VALU_DEP_4)
	v_add_co_u32 v1, vcc_lo, v5, v8
	s_wait_alu 0xfffd
	v_add_co_ci_u32_e32 v5, vcc_lo, 0, v9, vcc_lo
	s_delay_alu instid0(VALU_DEP_2) | instskip(SKIP_1) | instid1(VALU_DEP_2)
	v_add_co_u32 v1, vcc_lo, v1, v10
	s_wait_alu 0xfffd
	v_add_co_ci_u32_e32 v1, vcc_lo, v5, v11, vcc_lo
	s_wait_alu 0xfffd
	v_add_co_ci_u32_e32 v5, vcc_lo, 0, v13, vcc_lo
	s_delay_alu instid0(VALU_DEP_2) | instskip(SKIP_1) | instid1(VALU_DEP_2)
	v_add_co_u32 v1, vcc_lo, v1, v12
	s_wait_alu 0xfffd
	v_add_co_ci_u32_e32 v5, vcc_lo, 0, v5, vcc_lo
	s_delay_alu instid0(VALU_DEP_2) | instskip(SKIP_1) | instid1(VALU_DEP_3)
	v_mul_lo_u32 v10, s29, v1
	v_mad_co_u64_u32 v[8:9], null, s28, v1, 0
	v_mul_lo_u32 v11, s28, v5
	s_delay_alu instid0(VALU_DEP_2) | instskip(NEXT) | instid1(VALU_DEP_2)
	v_sub_co_u32 v8, vcc_lo, v6, v8
	v_add3_u32 v9, v9, v11, v10
	s_delay_alu instid0(VALU_DEP_1) | instskip(SKIP_1) | instid1(VALU_DEP_1)
	v_sub_nc_u32_e32 v10, v7, v9
	s_wait_alu 0xfffd
	v_subrev_co_ci_u32_e64 v10, s2, s29, v10, vcc_lo
	v_add_co_u32 v11, s2, v1, 2
	s_wait_alu 0xf1ff
	v_add_co_ci_u32_e64 v12, s2, 0, v5, s2
	v_sub_co_u32 v13, s2, v8, s28
	v_sub_co_ci_u32_e32 v9, vcc_lo, v7, v9, vcc_lo
	s_wait_alu 0xf1ff
	v_subrev_co_ci_u32_e64 v10, s2, 0, v10, s2
	s_delay_alu instid0(VALU_DEP_3) | instskip(NEXT) | instid1(VALU_DEP_3)
	v_cmp_le_u32_e32 vcc_lo, s28, v13
	v_cmp_eq_u32_e64 s2, s29, v9
	s_wait_alu 0xfffd
	v_cndmask_b32_e64 v13, 0, -1, vcc_lo
	v_cmp_le_u32_e32 vcc_lo, s29, v10
	s_wait_alu 0xfffd
	v_cndmask_b32_e64 v14, 0, -1, vcc_lo
	v_cmp_le_u32_e32 vcc_lo, s28, v8
	;; [unrolled: 3-line block ×3, first 2 shown]
	s_wait_alu 0xfffd
	v_cndmask_b32_e64 v15, 0, -1, vcc_lo
	v_cmp_eq_u32_e32 vcc_lo, s29, v10
	s_wait_alu 0xf1ff
	s_delay_alu instid0(VALU_DEP_2)
	v_cndmask_b32_e64 v8, v15, v8, s2
	s_wait_alu 0xfffd
	v_cndmask_b32_e32 v10, v14, v13, vcc_lo
	v_add_co_u32 v13, vcc_lo, v1, 1
	s_wait_alu 0xfffd
	v_add_co_ci_u32_e32 v14, vcc_lo, 0, v5, vcc_lo
	s_delay_alu instid0(VALU_DEP_3) | instskip(SKIP_1) | instid1(VALU_DEP_2)
	v_cmp_ne_u32_e32 vcc_lo, 0, v10
	s_wait_alu 0xfffd
	v_dual_cndmask_b32 v9, v14, v12 :: v_dual_cndmask_b32 v10, v13, v11
	v_cmp_ne_u32_e32 vcc_lo, 0, v8
	s_wait_alu 0xfffd
	s_delay_alu instid0(VALU_DEP_2) | instskip(NEXT) | instid1(VALU_DEP_3)
	v_cndmask_b32_e32 v19, v5, v9, vcc_lo
	v_cndmask_b32_e32 v18, v1, v10, vcc_lo
.LBB0_4:                                ;   in Loop: Header=BB0_2 Depth=1
	s_wait_alu 0xfffe
	s_and_not1_saveexec_b32 s2, s30
	s_cbranch_execz .LBB0_6
; %bb.5:                                ;   in Loop: Header=BB0_2 Depth=1
	v_cvt_f32_u32_e32 v1, s28
	s_sub_co_i32 s30, 0, s28
	v_mov_b32_e32 v19, v4
	s_delay_alu instid0(VALU_DEP_2) | instskip(NEXT) | instid1(TRANS32_DEP_1)
	v_rcp_iflag_f32_e32 v1, v1
	v_mul_f32_e32 v1, 0x4f7ffffe, v1
	s_delay_alu instid0(VALU_DEP_1) | instskip(SKIP_1) | instid1(VALU_DEP_1)
	v_cvt_u32_f32_e32 v1, v1
	s_wait_alu 0xfffe
	v_mul_lo_u32 v5, s30, v1
	s_delay_alu instid0(VALU_DEP_1) | instskip(NEXT) | instid1(VALU_DEP_1)
	v_mul_hi_u32 v5, v1, v5
	v_add_nc_u32_e32 v1, v1, v5
	s_delay_alu instid0(VALU_DEP_1) | instskip(NEXT) | instid1(VALU_DEP_1)
	v_mul_hi_u32 v1, v6, v1
	v_mul_lo_u32 v5, v1, s28
	v_add_nc_u32_e32 v8, 1, v1
	s_delay_alu instid0(VALU_DEP_2) | instskip(NEXT) | instid1(VALU_DEP_1)
	v_sub_nc_u32_e32 v5, v6, v5
	v_subrev_nc_u32_e32 v9, s28, v5
	v_cmp_le_u32_e32 vcc_lo, s28, v5
	s_wait_alu 0xfffd
	s_delay_alu instid0(VALU_DEP_2) | instskip(SKIP_1) | instid1(VALU_DEP_2)
	v_cndmask_b32_e32 v5, v5, v9, vcc_lo
	v_cndmask_b32_e32 v1, v1, v8, vcc_lo
	v_cmp_le_u32_e32 vcc_lo, s28, v5
	s_delay_alu instid0(VALU_DEP_2) | instskip(SKIP_1) | instid1(VALU_DEP_1)
	v_add_nc_u32_e32 v8, 1, v1
	s_wait_alu 0xfffd
	v_cndmask_b32_e32 v18, v1, v8, vcc_lo
.LBB0_6:                                ;   in Loop: Header=BB0_2 Depth=1
	s_wait_alu 0xfffe
	s_or_b32 exec_lo, exec_lo, s2
	v_mul_lo_u32 v1, v19, s28
	s_delay_alu instid0(VALU_DEP_2)
	v_mul_lo_u32 v5, v18, s29
	s_load_b64 s[30:31], s[22:23], 0x0
	v_mad_co_u64_u32 v[8:9], null, v18, s28, 0
	s_load_b64 s[28:29], s[20:21], 0x0
	s_add_nc_u64 s[24:25], s[24:25], 1
	s_add_nc_u64 s[20:21], s[20:21], 8
	s_wait_alu 0xfffe
	v_cmp_ge_u64_e64 s2, s[24:25], s[10:11]
	s_add_nc_u64 s[22:23], s[22:23], 8
	s_add_nc_u64 s[26:27], s[26:27], 8
	v_add3_u32 v1, v9, v5, v1
	v_sub_co_u32 v5, vcc_lo, v6, v8
	s_wait_alu 0xfffd
	s_delay_alu instid0(VALU_DEP_2) | instskip(SKIP_2) | instid1(VALU_DEP_1)
	v_sub_co_ci_u32_e32 v1, vcc_lo, v7, v1, vcc_lo
	s_and_b32 vcc_lo, exec_lo, s2
	s_wait_kmcnt 0x0
	v_mul_lo_u32 v6, s30, v1
	v_mul_lo_u32 v7, s31, v5
	v_mad_co_u64_u32 v[2:3], null, s30, v5, v[2:3]
	v_mul_lo_u32 v1, s28, v1
	v_mul_lo_u32 v8, s29, v5
	v_mad_co_u64_u32 v[16:17], null, s28, v5, v[16:17]
	s_delay_alu instid0(VALU_DEP_4) | instskip(NEXT) | instid1(VALU_DEP_2)
	v_add3_u32 v3, v7, v3, v6
	v_add3_u32 v17, v8, v17, v1
	s_wait_alu 0xfffe
	s_cbranch_vccnz .LBB0_9
; %bb.7:                                ;   in Loop: Header=BB0_2 Depth=1
	v_dual_mov_b32 v6, v18 :: v_dual_mov_b32 v7, v19
	s_branch .LBB0_2
.LBB0_8:
	v_dual_mov_b32 v17, v3 :: v_dual_mov_b32 v16, v2
	s_delay_alu instid0(VALU_DEP_2)
	v_dual_mov_b32 v19, v7 :: v_dual_mov_b32 v18, v6
.LBB0_9:
	s_load_b64 s[0:1], s[0:1], 0x28
	v_mul_hi_u32 v1, 0x2e8ba2f, v0
	s_lshl_b64 s[2:3], s[10:11], 3
                                        ; implicit-def: $vgpr9
                                        ; implicit-def: $vgpr7
                                        ; implicit-def: $vgpr5
                                        ; implicit-def: $vgpr25
                                        ; implicit-def: $vgpr23
                                        ; implicit-def: $vgpr21
                                        ; implicit-def: $vgpr11
                                        ; implicit-def: $vgpr13
                                        ; implicit-def: $vgpr15
                                        ; implicit-def: $vgpr27
	s_delay_alu instid0(VALU_DEP_1) | instskip(NEXT) | instid1(VALU_DEP_1)
	v_mul_u32_u24_e32 v1, 0x58, v1
	v_sub_nc_u32_e32 v28, v0, v1
	v_dual_mov_b32 v1, 0 :: v_dual_mov_b32 v0, 0
	s_wait_kmcnt 0x0
	v_cmp_gt_u64_e32 vcc_lo, s[0:1], v[18:19]
	s_delay_alu instid0(VALU_DEP_3) | instskip(NEXT) | instid1(VALU_DEP_1)
	v_cmp_gt_u32_e64 s0, 56, v28
	s_and_b32 s1, vcc_lo, s0
	s_wait_alu 0xfffe
	s_and_saveexec_b32 s10, s1
	s_cbranch_execz .LBB0_11
; %bb.10:
	s_add_nc_u64 s[12:13], s[12:13], s[2:3]
	v_mad_co_u64_u32 v[0:1], null, s18, v28, 0
	s_load_b64 s[12:13], s[12:13], 0x0
	v_lshlrev_b64_e32 v[2:3], 3, v[2:3]
	v_add_nc_u32_e32 v24, 0xe0, v28
	v_add_nc_u32_e32 v23, 0xa8, v28
	;; [unrolled: 1-line block ×4, first 2 shown]
	v_mad_co_u64_u32 v[12:13], null, s19, v28, v[1:2]
	v_mad_co_u64_u32 v[13:14], null, s18, v24, 0
	v_add_nc_u32_e32 v15, 56, v28
	v_mad_co_u64_u32 v[8:9], null, s18, v23, 0
	s_delay_alu instid0(VALU_DEP_2)
	v_mad_co_u64_u32 v[4:5], null, s18, v15, 0
	v_add_nc_u32_e32 v22, 0x70, v28
	s_wait_kmcnt 0x0
	v_mul_lo_u32 v20, s13, v18
	v_mul_lo_u32 v21, s12, v19
	v_mad_co_u64_u32 v[10:11], null, s12, v18, 0
	v_mov_b32_e32 v1, v5
	v_mad_co_u64_u32 v[6:7], null, s18, v22, 0
	s_delay_alu instid0(VALU_DEP_3) | instskip(NEXT) | instid1(VALU_DEP_3)
	v_add3_u32 v11, v11, v21, v20
	v_mad_co_u64_u32 v[20:21], null, s19, v15, v[1:2]
	s_delay_alu instid0(VALU_DEP_3) | instskip(SKIP_1) | instid1(VALU_DEP_4)
	v_mov_b32_e32 v5, v7
	v_mov_b32_e32 v7, v9
	v_lshlrev_b64_e32 v[9:10], 3, v[10:11]
	v_mov_b32_e32 v1, v12
	s_delay_alu instid0(VALU_DEP_4)
	v_mad_co_u64_u32 v[21:22], null, s19, v22, v[5:6]
	v_dual_mov_b32 v5, v20 :: v_dual_add_nc_u32 v20, 0x118, v28
	v_mad_co_u64_u32 v[11:12], null, s19, v23, v[7:8]
	v_add_co_u32 v9, s1, s4, v9
	s_wait_alu 0xf1ff
	v_add_co_ci_u32_e64 v10, s1, s5, v10, s1
	v_mov_b32_e32 v7, v21
	s_delay_alu instid0(VALU_DEP_3)
	v_add_co_u32 v34, s1, v9, v2
	v_mov_b32_e32 v9, v11
	v_lshlrev_b64_e32 v[0:1], 3, v[0:1]
	s_wait_alu 0xf1ff
	v_add_co_ci_u32_e64 v35, s1, v10, v3, s1
	v_mad_co_u64_u32 v[10:11], null, s18, v20, 0
	v_lshlrev_b64_e32 v[2:3], 3, v[4:5]
	v_lshlrev_b64_e32 v[4:5], 3, v[6:7]
	;; [unrolled: 1-line block ×3, first 2 shown]
	v_mov_b32_e32 v6, v14
	v_add_co_u32 v0, s1, v34, v0
	s_wait_alu 0xf1ff
	v_add_co_ci_u32_e64 v1, s1, v35, v1, s1
	s_delay_alu instid0(VALU_DEP_3)
	v_mad_co_u64_u32 v[14:15], null, s19, v24, v[6:7]
	v_mov_b32_e32 v6, v11
	v_add_co_u32 v2, s1, v34, v2
	v_add_nc_u32_e32 v15, 0x150, v28
	s_wait_alu 0xf1ff
	v_add_co_ci_u32_e64 v3, s1, v35, v3, s1
	v_add_co_u32 v4, s1, v34, v4
	v_mad_co_u64_u32 v[20:21], null, s19, v20, v[6:7]
	s_wait_alu 0xf1ff
	v_add_co_ci_u32_e64 v5, s1, v35, v5, s1
	v_mad_co_u64_u32 v[21:22], null, s18, v15, 0
	v_add_co_u32 v11, s1, v34, v7
	s_wait_alu 0xf1ff
	v_add_co_ci_u32_e64 v12, s1, v35, v8, s1
	s_clause 0x3
	global_load_b64 v[0:1], v[0:1], off
	global_load_b64 v[8:9], v[2:3], off
	;; [unrolled: 1-line block ×4, first 2 shown]
	v_lshlrev_b64_e32 v[2:3], 3, v[13:14]
	v_mad_co_u64_u32 v[13:14], null, s18, v25, 0
	v_dual_mov_b32 v12, v22 :: v_dual_mov_b32 v11, v20
	v_or_b32_e32 v20, 0x1c0, v28
	s_delay_alu instid0(VALU_DEP_4)
	v_add_co_u32 v2, s1, v34, v2
	s_wait_alu 0xf1ff
	v_add_co_ci_u32_e64 v3, s1, v35, v3, s1
	v_mad_co_u64_u32 v[22:23], null, s19, v15, v[12:13]
	v_mad_co_u64_u32 v[23:24], null, s18, v20, 0
	v_mov_b32_e32 v12, v14
	v_lshlrev_b64_e32 v[10:11], 3, v[10:11]
	s_delay_alu instid0(VALU_DEP_2) | instskip(NEXT) | instid1(VALU_DEP_4)
	v_mad_co_u64_u32 v[14:15], null, s19, v25, v[12:13]
	v_mov_b32_e32 v12, v24
	v_mad_co_u64_u32 v[25:26], null, s18, v27, 0
	v_add_nc_u32_e32 v15, 0x230, v28
	v_add_co_u32 v10, s1, v34, v10
	s_delay_alu instid0(VALU_DEP_4) | instskip(NEXT) | instid1(VALU_DEP_3)
	v_mad_co_u64_u32 v[29:30], null, s19, v20, v[12:13]
	v_mad_co_u64_u32 v[30:31], null, s18, v15, 0
	v_mov_b32_e32 v12, v26
	v_lshlrev_b64_e32 v[20:21], 3, v[21:22]
	s_wait_alu 0xf1ff
	v_add_co_ci_u32_e64 v11, s1, v35, v11, s1
	v_mov_b32_e32 v24, v29
	v_mad_co_u64_u32 v[26:27], null, s19, v27, v[12:13]
	v_lshlrev_b64_e32 v[13:14], 3, v[13:14]
	v_mov_b32_e32 v12, v31
	v_add_co_u32 v20, s1, v34, v20
	v_lshlrev_b64_e32 v[22:23], 3, v[23:24]
	s_wait_alu 0xf1ff
	v_add_co_ci_u32_e64 v21, s1, v35, v21, s1
	v_mad_co_u64_u32 v[31:32], null, s19, v15, v[12:13]
	v_add_co_u32 v12, s1, v34, v13
	s_wait_alu 0xf1ff
	v_add_co_ci_u32_e64 v13, s1, v35, v14, s1
	v_lshlrev_b64_e32 v[14:15], 3, v[25:26]
	v_add_co_u32 v32, s1, v34, v22
	s_wait_alu 0xf1ff
	v_add_co_ci_u32_e64 v33, s1, v35, v23, s1
	v_lshlrev_b64_e32 v[22:23], 3, v[30:31]
	s_delay_alu instid0(VALU_DEP_4) | instskip(SKIP_2) | instid1(VALU_DEP_3)
	v_add_co_u32 v29, s1, v34, v14
	s_wait_alu 0xf1ff
	v_add_co_ci_u32_e64 v30, s1, v35, v15, s1
	v_add_co_u32 v34, s1, v34, v22
	s_wait_alu 0xf1ff
	v_add_co_ci_u32_e64 v35, s1, v35, v23, s1
	s_clause 0x6
	global_load_b64 v[24:25], v[2:3], off
	global_load_b64 v[22:23], v[10:11], off
	;; [unrolled: 1-line block ×7, first 2 shown]
.LBB0_11:
	s_wait_alu 0xfffe
	s_or_b32 exec_lo, exec_lo, s10
	s_wait_loadcnt 0x0
	v_dual_add_f32 v40, v8, v10 :: v_dual_sub_f32 v29, v9, v11
	v_sub_f32_e32 v46, v8, v10
	v_dual_add_f32 v32, v9, v11 :: v_dual_add_f32 v39, v6, v12
	s_delay_alu instid0(VALU_DEP_3) | instskip(NEXT) | instid1(VALU_DEP_3)
	v_mul_f32_e32 v49, 0xbf27a4f4, v40
	v_dual_sub_f32 v47, v6, v12 :: v_dual_mul_f32 v54, 0xbf4178ce, v46
	v_sub_f32_e32 v30, v7, v13
	s_delay_alu instid0(VALU_DEP_4) | instskip(NEXT) | instid1(VALU_DEP_4)
	v_dual_mul_f32 v50, 0xbe11bafb, v39 :: v_dual_add_f32 v41, v4, v14
	v_dual_fmamk_f32 v2, v29, 0xbf4178ce, v49 :: v_dual_add_f32 v31, v7, v13
	s_delay_alu instid0(VALU_DEP_4) | instskip(SKIP_1) | instid1(VALU_DEP_4)
	v_fma_f32 v3, 0xbf27a4f4, v32, -v54
	v_mul_f32_e32 v55, 0x3f7d64f0, v47
	v_dual_fmamk_f32 v35, v30, 0x3f7d64f0, v50 :: v_dual_sub_f32 v48, v4, v14
	s_delay_alu instid0(VALU_DEP_3) | instskip(NEXT) | instid1(VALU_DEP_3)
	v_dual_add_f32 v2, v0, v2 :: v_dual_add_f32 v3, v1, v3
	v_fma_f32 v36, 0xbe11bafb, v31, -v55
	v_dual_add_f32 v34, v5, v15 :: v_dual_mul_f32 v51, 0x3f575c64, v41
	s_delay_alu instid0(VALU_DEP_4) | instskip(NEXT) | instid1(VALU_DEP_3)
	v_dual_sub_f32 v33, v5, v15 :: v_dual_mul_f32 v56, 0xbf0a6770, v48
	v_dual_add_f32 v2, v2, v35 :: v_dual_add_f32 v3, v3, v36
	v_dual_add_f32 v42, v24, v26 :: v_dual_sub_f32 v35, v25, v27
	s_delay_alu instid0(VALU_DEP_3) | instskip(NEXT) | instid1(VALU_DEP_4)
	v_dual_fmamk_f32 v36, v33, 0xbf0a6770, v51 :: v_dual_sub_f32 v45, v24, v26
	v_fma_f32 v37, 0x3f575c64, v34, -v56
	s_delay_alu instid0(VALU_DEP_3) | instskip(SKIP_1) | instid1(VALU_DEP_4)
	v_mul_f32_e32 v53, 0xbf75a155, v42
	v_dual_add_f32 v43, v22, v20 :: v_dual_add_f32 v38, v23, v21
	v_add_f32_e32 v2, v2, v36
	s_delay_alu instid0(VALU_DEP_4) | instskip(NEXT) | instid1(VALU_DEP_4)
	v_dual_add_f32 v36, v25, v27 :: v_dual_add_f32 v3, v3, v37
	v_dual_mul_f32 v58, 0xbe903f40, v45 :: v_dual_fmamk_f32 v59, v35, 0xbe903f40, v53
	v_dual_sub_f32 v44, v22, v20 :: v_dual_sub_f32 v37, v23, v21
	s_add_nc_u64 s[2:3], s[14:15], s[2:3]
	s_delay_alu instid0(VALU_DEP_2) | instskip(SKIP_1) | instid1(VALU_DEP_3)
	v_fma_f32 v60, 0xbf75a155, v36, -v58
	v_mul_f32_e32 v52, 0x3ed4b147, v43
	v_dual_mul_f32 v57, 0x3f68dda4, v44 :: v_dual_add_f32 v2, v2, v59
	s_delay_alu instid0(VALU_DEP_3) | instskip(NEXT) | instid1(VALU_DEP_3)
	v_add_f32_e32 v3, v3, v60
	v_fmamk_f32 v59, v37, 0x3f68dda4, v52
	s_delay_alu instid0(VALU_DEP_3) | instskip(NEXT) | instid1(VALU_DEP_1)
	v_fma_f32 v60, 0x3ed4b147, v38, -v57
	v_dual_add_f32 v2, v59, v2 :: v_dual_add_f32 v3, v60, v3
	s_and_saveexec_b32 s1, s0
	s_cbranch_execz .LBB0_13
; %bb.12:
	v_mul_f32_e32 v77, 0x3f0a6770, v30
	v_mul_f32_e32 v80, 0xbf4178ce, v33
	;; [unrolled: 1-line block ×3, first 2 shown]
	v_dual_mul_f32 v59, 0xbe903f40, v46 :: v_dual_mul_f32 v68, 0xbe903f40, v35
	s_delay_alu instid0(VALU_DEP_4) | instskip(SKIP_2) | instid1(VALU_DEP_4)
	v_fmamk_f32 v79, v39, 0x3f575c64, v77
	v_mul_f32_e32 v73, 0xbe903f40, v29
	v_mul_f32_e32 v71, 0xbf75a155, v36
	v_fma_f32 v60, 0xbf75a155, v32, -v59
	v_mul_f32_e32 v65, 0x3f0a6770, v47
	v_mul_f32_e32 v61, 0xbf4178ce, v29
	v_fmamk_f32 v76, v40, 0xbf75a155, v73
	s_delay_alu instid0(VALU_DEP_4) | instskip(NEXT) | instid1(VALU_DEP_4)
	v_dual_mul_f32 v67, 0x3f575c64, v34 :: v_dual_add_f32 v60, v1, v60
	v_fma_f32 v69, 0x3f575c64, v31, -v65
	s_delay_alu instid0(VALU_DEP_3) | instskip(SKIP_2) | instid1(VALU_DEP_4)
	v_dual_mul_f32 v63, 0x3f7d64f0, v30 :: v_dual_add_f32 v76, v0, v76
	v_mul_f32_e32 v74, 0x3f68dda4, v45
	v_mul_f32_e32 v78, 0xbf7d64f0, v44
	v_add_f32_e32 v60, v60, v69
	v_dual_mul_f32 v72, 0x3f68dda4, v37 :: v_dual_mul_f32 v81, 0x3f68dda4, v35
	v_dual_add_f32 v76, v76, v79 :: v_dual_fmamk_f32 v79, v41, 0xbf27a4f4, v80
	v_mul_f32_e32 v70, 0xbf4178ce, v48
	v_dual_add_f32 v54, v62, v54 :: v_dual_fmac_f32 v59, 0xbf75a155, v32
	v_fma_f32 v73, 0xbf75a155, v40, -v73
	v_dual_add_f32 v58, v71, v58 :: v_dual_sub_f32 v53, v53, v68
	s_delay_alu instid0(VALU_DEP_4) | instskip(NEXT) | instid1(VALU_DEP_4)
	v_fma_f32 v69, 0xbf27a4f4, v34, -v70
	v_add_f32_e32 v54, v1, v54
	v_dual_mul_f32 v66, 0xbf0a6770, v33 :: v_dual_add_f32 v59, v1, v59
	v_sub_f32_e32 v50, v50, v63
	s_delay_alu instid0(VALU_DEP_4) | instskip(SKIP_4) | instid1(VALU_DEP_4)
	v_add_f32_e32 v60, v60, v69
	v_fma_f32 v69, 0x3ed4b147, v36, -v74
	v_mul_f32_e32 v75, 0x3ed4b147, v38
	v_add_f32_e32 v73, v0, v73
	v_sub_f32_e32 v49, v49, v61
	v_dual_mul_f32 v63, 0xbf7d64f0, v46 :: v_dual_add_f32 v60, v60, v69
	v_fma_f32 v69, 0xbe11bafb, v38, -v78
	v_add_f32_e32 v57, v75, v57
	s_delay_alu instid0(VALU_DEP_4) | instskip(NEXT) | instid1(VALU_DEP_3)
	v_dual_add_f32 v49, v0, v49 :: v_dual_add_f32 v56, v67, v56
	v_dual_mul_f32 v67, 0x3f575c64, v42 :: v_dual_add_f32 v60, v69, v60
	v_add_f32_e32 v69, v76, v79
	s_delay_alu instid0(VALU_DEP_3)
	v_add_f32_e32 v49, v49, v50
	v_fmac_f32_e32 v70, 0xbf27a4f4, v34
	v_fmac_f32_e32 v65, 0x3f575c64, v31
	v_mul_f32_e32 v64, 0xbe11bafb, v31
	v_fmamk_f32 v76, v42, 0x3ed4b147, v81
	v_mul_f32_e32 v79, 0xbf7d64f0, v37
	s_delay_alu instid0(VALU_DEP_4) | instskip(NEXT) | instid1(VALU_DEP_3)
	v_dual_fmac_f32 v78, 0xbe11bafb, v38 :: v_dual_add_f32 v59, v59, v65
	v_dual_sub_f32 v50, v51, v66 :: v_dual_add_f32 v65, v69, v76
	v_fma_f32 v76, 0x3f575c64, v39, -v77
	s_delay_alu instid0(VALU_DEP_4) | instskip(NEXT) | instid1(VALU_DEP_4)
	v_fmamk_f32 v69, v43, 0xbe11bafb, v79
	v_add_f32_e32 v70, v59, v70
	s_delay_alu instid0(VALU_DEP_4) | instskip(NEXT) | instid1(VALU_DEP_4)
	v_dual_fmac_f32 v74, 0x3ed4b147, v36 :: v_dual_add_f32 v49, v49, v50
	v_add_f32_e32 v62, v73, v76
	s_delay_alu instid0(VALU_DEP_4) | instskip(SKIP_1) | instid1(VALU_DEP_4)
	v_add_f32_e32 v59, v69, v65
	v_mul_f32_e32 v73, 0x3f7d64f0, v45
	v_add_f32_e32 v69, v70, v74
	v_fma_f32 v65, 0xbf27a4f4, v41, -v80
	v_add_f32_e32 v49, v49, v53
	v_mul_f32_e32 v53, 0xbe11bafb, v40
	v_sub_f32_e32 v52, v52, v72
	s_delay_alu instid0(VALU_DEP_4) | instskip(SKIP_4) | instid1(VALU_DEP_4)
	v_dual_fmamk_f32 v77, v36, 0xbe11bafb, v73 :: v_dual_add_f32 v62, v62, v65
	v_fma_f32 v65, 0x3ed4b147, v42, -v81
	v_dual_add_f32 v64, v64, v55 :: v_dual_add_f32 v55, v78, v69
	v_mul_f32_e32 v78, 0xbf0a6770, v46
	v_mul_f32_e32 v81, 0xbf68dda4, v47
	v_add_f32_e32 v61, v62, v65
	s_delay_alu instid0(VALU_DEP_4)
	v_add_f32_e32 v54, v54, v64
	v_fma_f32 v62, 0xbe11bafb, v43, -v79
	v_mul_f32_e32 v65, 0x3ed4b147, v41
	v_mul_f32_e32 v66, 0xbf68dda4, v46
	;; [unrolled: 1-line block ×3, first 2 shown]
	v_add_f32_e32 v56, v54, v56
	v_add_f32_e32 v54, v62, v61
	v_fmamk_f32 v80, v32, 0x3f575c64, v78
	v_fmamk_f32 v69, v32, 0x3ed4b147, v66
	;; [unrolled: 1-line block ×3, first 2 shown]
	v_add_f32_e32 v51, v56, v58
	v_fmamk_f32 v56, v32, 0xbe11bafb, v63
	v_fmac_f32_e32 v72, 0xbf68dda4, v29
	v_add_f32_e32 v9, v1, v9
	v_add_f32_e32 v80, v1, v80
	v_dual_add_f32 v50, v57, v51 :: v_dual_mul_f32 v57, 0xbf0a6770, v45
	v_add_f32_e32 v56, v1, v56
	v_mul_f32_e32 v58, 0x3e903f40, v47
	v_dual_fmamk_f32 v82, v31, 0x3ed4b147, v81 :: v_dual_add_f32 v7, v9, v7
	v_mul_f32_e32 v40, 0x3f575c64, v40
	s_delay_alu instid0(VALU_DEP_2) | instskip(NEXT) | instid1(VALU_DEP_3)
	v_dual_fmamk_f32 v61, v31, 0xbf75a155, v58 :: v_dual_add_f32 v80, v80, v82
	v_add_f32_e32 v5, v7, v5
	s_delay_alu instid0(VALU_DEP_2) | instskip(SKIP_2) | instid1(VALU_DEP_1)
	v_add_f32_e32 v51, v56, v61
	v_fmamk_f32 v61, v29, 0x3f7d64f0, v53
	v_dual_mul_f32 v62, 0x3f68dda4, v48 :: v_dual_add_f32 v49, v52, v49
	v_dual_add_f32 v5, v5, v25 :: v_dual_fmamk_f32 v56, v34, 0x3ed4b147, v62
	s_delay_alu instid0(VALU_DEP_1) | instskip(SKIP_1) | instid1(VALU_DEP_2)
	v_dual_mul_f32 v64, 0xbf75a155, v39 :: v_dual_add_f32 v51, v51, v56
	v_fmamk_f32 v56, v36, 0x3f575c64, v57
	v_dual_add_f32 v52, v0, v61 :: v_dual_fmamk_f32 v61, v30, 0xbe903f40, v64
	s_delay_alu instid0(VALU_DEP_2) | instskip(NEXT) | instid1(VALU_DEP_2)
	v_dual_fmac_f32 v64, 0x3e903f40, v30 :: v_dual_add_f32 v51, v51, v56
	v_dual_add_f32 v52, v52, v61 :: v_dual_fmamk_f32 v61, v33, 0xbf68dda4, v65
	s_delay_alu instid0(VALU_DEP_1) | instskip(NEXT) | instid1(VALU_DEP_1)
	v_dual_mul_f32 v56, 0xbf4178ce, v44 :: v_dual_add_f32 v61, v52, v61
	v_fmamk_f32 v68, v38, 0xbf27a4f4, v56
	s_delay_alu instid0(VALU_DEP_1) | instskip(SKIP_2) | instid1(VALU_DEP_3)
	v_dual_fmamk_f32 v71, v35, 0x3f0a6770, v67 :: v_dual_add_f32 v52, v68, v51
	v_dual_add_f32 v51, v1, v69 :: v_dual_mul_f32 v70, 0xbf4178ce, v47
	v_mul_f32_e32 v69, 0x3e903f40, v48
	v_dual_add_f32 v61, v61, v71 :: v_dual_mul_f32 v48, 0xbf7d64f0, v48
	s_delay_alu instid0(VALU_DEP_3) | instskip(NEXT) | instid1(VALU_DEP_1)
	v_fmamk_f32 v68, v31, 0xbf27a4f4, v70
	v_dual_fmamk_f32 v82, v34, 0xbe11bafb, v48 :: v_dual_add_f32 v51, v51, v68
	s_delay_alu instid0(VALU_DEP_4) | instskip(SKIP_1) | instid1(VALU_DEP_2)
	v_fmamk_f32 v68, v34, 0xbf75a155, v69
	v_mul_f32_e32 v71, 0xbf27a4f4, v43
	v_dual_add_f32 v9, v80, v82 :: v_dual_add_f32 v68, v51, v68
	s_delay_alu instid0(VALU_DEP_1) | instskip(NEXT) | instid1(VALU_DEP_1)
	v_dual_add_f32 v68, v68, v77 :: v_dual_mul_f32 v77, 0x3f0a6770, v44
	v_fmamk_f32 v79, v38, 0x3f575c64, v77
	s_delay_alu instid0(VALU_DEP_4)
	v_fmamk_f32 v74, v37, 0x3f4178ce, v71
	v_mul_f32_e32 v76, 0xbf27a4f4, v39
	v_mul_f32_e32 v39, 0x3ed4b147, v39
	v_add_f32_e32 v7, v0, v8
	v_mul_f32_e32 v45, 0xbf4178ce, v45
	v_add_f32_e32 v51, v74, v61
	v_dual_add_f32 v61, v0, v75 :: v_dual_fmamk_f32 v74, v30, 0x3f4178ce, v76
	s_delay_alu instid0(VALU_DEP_4) | instskip(SKIP_2) | instid1(VALU_DEP_4)
	v_dual_mul_f32 v75, 0xbf75a155, v41 :: v_dual_add_f32 v6, v7, v6
	v_fmamk_f32 v8, v29, 0x3f0a6770, v40
	v_fmac_f32_e32 v40, 0xbf0a6770, v29
	v_add_f32_e32 v46, v61, v74
	v_mul_f32_e32 v74, 0xbe11bafb, v42
	v_dual_fmamk_f32 v61, v33, 0xbe903f40, v75 :: v_dual_add_f32 v4, v6, v4
	v_dual_add_f32 v5, v5, v23 :: v_dual_fmac_f32 v76, 0xbf4178ce, v30
	s_delay_alu instid0(VALU_DEP_2) | instskip(NEXT) | instid1(VALU_DEP_3)
	v_dual_fmamk_f32 v47, v35, 0xbf7d64f0, v74 :: v_dual_add_f32 v46, v46, v61
	v_dual_mul_f32 v61, 0x3f575c64, v43 :: v_dual_add_f32 v4, v4, v24
	s_delay_alu instid0(VALU_DEP_2) | instskip(SKIP_1) | instid1(VALU_DEP_3)
	v_dual_add_f32 v5, v5, v21 :: v_dual_add_f32 v46, v46, v47
	v_dual_add_f32 v47, v79, v68 :: v_dual_fmamk_f32 v68, v36, 0xbf27a4f4, v45
	v_dual_mul_f32 v25, 0xbe11bafb, v41 :: v_dual_add_f32 v4, v4, v22
	v_mul_f32_e32 v21, 0xbf27a4f4, v42
	v_mul_f32_e32 v22, 0xbf75a155, v43
	s_delay_alu instid0(VALU_DEP_4) | instskip(SKIP_4) | instid1(VALU_DEP_4)
	v_add_f32_e32 v6, v9, v68
	v_dual_add_f32 v7, v0, v8 :: v_dual_fmamk_f32 v8, v30, 0x3f68dda4, v39
	v_dual_add_f32 v4, v4, v20 :: v_dual_fmamk_f32 v83, v37, 0xbf0a6770, v61
	v_fmac_f32_e32 v61, 0x3f0a6770, v37
	v_mad_u32_u24 v20, 0x58, v28, 0
	v_dual_add_f32 v7, v7, v8 :: v_dual_fmamk_f32 v8, v33, 0x3f7d64f0, v25
	s_delay_alu instid0(VALU_DEP_4) | instskip(SKIP_1) | instid1(VALU_DEP_3)
	v_dual_add_f32 v46, v83, v46 :: v_dual_fmac_f32 v25, 0xbf7d64f0, v33
	v_fmac_f32_e32 v39, 0xbf68dda4, v30
	v_add_f32_e32 v7, v7, v8
	v_dual_fmamk_f32 v8, v35, 0x3f4178ce, v21 :: v_dual_add_f32 v5, v5, v27
	v_fmac_f32_e32 v21, 0xbf4178ce, v35
	s_delay_alu instid0(VALU_DEP_2) | instskip(NEXT) | instid1(VALU_DEP_3)
	v_add_f32_e32 v7, v7, v8
	v_dual_add_f32 v15, v15, v5 :: v_dual_fmamk_f32 v8, v37, 0x3e903f40, v22
	v_dual_mul_f32 v23, 0xbe903f40, v44 :: v_dual_fmac_f32 v22, 0xbe903f40, v37
	s_delay_alu instid0(VALU_DEP_1) | instskip(NEXT) | instid1(VALU_DEP_1)
	v_fmamk_f32 v9, v38, 0xbf75a155, v23
	v_add_f32_e32 v5, v9, v6
	s_delay_alu instid0(VALU_DEP_4) | instskip(SKIP_1) | instid1(VALU_DEP_2)
	v_dual_add_f32 v6, v13, v15 :: v_dual_add_f32 v9, v4, v26
	v_fma_f32 v13, 0xbe11bafb, v32, -v63
	v_dual_add_f32 v4, v8, v7 :: v_dual_add_f32 v7, v11, v6
	s_delay_alu instid0(VALU_DEP_3) | instskip(SKIP_1) | instid1(VALU_DEP_4)
	v_add_f32_e32 v6, v14, v9
	v_fmac_f32_e32 v53, 0xbf7d64f0, v29
	v_add_f32_e32 v8, v1, v13
	v_fma_f32 v9, 0xbf75a155, v31, -v58
	v_fma_f32 v13, 0xbf27a4f4, v31, -v70
	v_add_f32_e32 v6, v12, v6
	v_add_f32_e32 v11, v0, v53
	v_fma_f32 v12, 0x3ed4b147, v32, -v66
	v_add_f32_e32 v8, v8, v9
	v_fma_f32 v9, 0x3ed4b147, v34, -v62
	v_dual_fmac_f32 v65, 0x3f68dda4, v33 :: v_dual_add_f32 v6, v10, v6
	s_delay_alu instid0(VALU_DEP_4) | instskip(NEXT) | instid1(VALU_DEP_3)
	v_add_f32_e32 v12, v1, v12
	v_dual_add_f32 v11, v11, v64 :: v_dual_add_f32 v8, v8, v9
	v_fma_f32 v9, 0x3f575c64, v36, -v57
	s_delay_alu instid0(VALU_DEP_3) | instskip(NEXT) | instid1(VALU_DEP_3)
	v_dual_fmac_f32 v67, 0xbf0a6770, v35 :: v_dual_add_f32 v12, v12, v13
	v_add_f32_e32 v11, v11, v65
	v_fma_f32 v13, 0xbf75a155, v34, -v69
	s_delay_alu instid0(VALU_DEP_4) | instskip(SKIP_2) | instid1(VALU_DEP_4)
	v_add_f32_e32 v8, v8, v9
	v_fma_f32 v9, 0xbf27a4f4, v38, -v56
	v_fma_f32 v14, 0xbf75a155, v38, -v23
	v_dual_add_f32 v11, v11, v67 :: v_dual_add_f32 v12, v12, v13
	v_fma_f32 v13, 0xbe11bafb, v36, -v73
	s_delay_alu instid0(VALU_DEP_1) | instskip(SKIP_4) | instid1(VALU_DEP_3)
	v_add_f32_e32 v10, v12, v13
	v_add_f32_e32 v13, v0, v72
	v_dual_fmac_f32 v71, 0xbf4178ce, v37 :: v_dual_add_f32 v0, v0, v40
	v_add_f32_e32 v9, v9, v8
	v_fma_f32 v12, 0x3f575c64, v38, -v77
	v_dual_add_f32 v13, v13, v76 :: v_dual_add_f32 v8, v71, v11
	s_delay_alu instid0(VALU_DEP_4) | instskip(SKIP_1) | instid1(VALU_DEP_1)
	v_add_f32_e32 v0, v0, v39
	v_fma_f32 v11, 0x3f575c64, v32, -v78
	v_dual_add_f32 v0, v0, v25 :: v_dual_add_f32 v1, v1, v11
	v_fma_f32 v11, 0x3ed4b147, v31, -v81
	s_delay_alu instid0(VALU_DEP_2) | instskip(SKIP_1) | instid1(VALU_DEP_3)
	v_dual_fmac_f32 v74, 0x3f7d64f0, v35 :: v_dual_add_f32 v15, v0, v21
	v_fmac_f32_e32 v75, 0x3e903f40, v33
	v_add_f32_e32 v1, v1, v11
	v_fma_f32 v11, 0xbe11bafb, v34, -v48
	s_delay_alu instid0(VALU_DEP_1) | instskip(SKIP_1) | instid1(VALU_DEP_1)
	v_add_f32_e32 v1, v1, v11
	v_fma_f32 v11, 0xbf27a4f4, v36, -v45
	v_add_f32_e32 v11, v1, v11
	v_dual_add_f32 v1, v12, v10 :: v_dual_add_f32 v10, v22, v15
	v_add_f32_e32 v13, v13, v75
	s_delay_alu instid0(VALU_DEP_3) | instskip(NEXT) | instid1(VALU_DEP_2)
	v_add_f32_e32 v11, v14, v11
	v_add_f32_e32 v13, v13, v74
	s_delay_alu instid0(VALU_DEP_1)
	v_add_f32_e32 v0, v61, v13
	ds_store_2addr_b64 v20, v[6:7], v[4:5] offset1:1
	ds_store_2addr_b64 v20, v[46:47], v[51:52] offset0:2 offset1:3
	ds_store_2addr_b64 v20, v[49:50], v[54:55] offset0:4 offset1:5
	;; [unrolled: 1-line block ×4, first 2 shown]
	ds_store_b64 v20, v[10:11] offset:80
.LBB0_13:
	s_wait_alu 0xfffe
	s_or_b32 exec_lo, exec_lo, s1
	v_and_b32_e32 v0, 0xff, v28
	s_load_b64 s[2:3], s[2:3], 0x0
	global_wb scope:SCOPE_SE
	s_wait_dscnt 0x0
	s_wait_kmcnt 0x0
	s_barrier_signal -1
	s_barrier_wait -1
	v_mul_lo_u16 v0, 0x75, v0
	global_inv scope:SCOPE_SE
	v_lshl_add_u32 v20, v28, 3, 0
	v_cmp_gt_u32_e64 s0, 0x4d, v28
	v_lshrrev_b16 v0, 8, v0
	s_delay_alu instid0(VALU_DEP_1) | instskip(NEXT) | instid1(VALU_DEP_1)
	v_sub_nc_u16 v1, v28, v0
	v_lshrrev_b16 v1, 1, v1
	s_delay_alu instid0(VALU_DEP_1) | instskip(NEXT) | instid1(VALU_DEP_1)
	v_and_b32_e32 v1, 0x7f, v1
	v_add_nc_u16 v0, v1, v0
	s_delay_alu instid0(VALU_DEP_1) | instskip(NEXT) | instid1(VALU_DEP_1)
	v_lshrrev_b16 v0, 3, v0
	v_mul_lo_u16 v1, v0, 11
	v_and_b32_e32 v27, 0xffff, v0
	s_delay_alu instid0(VALU_DEP_2) | instskip(NEXT) | instid1(VALU_DEP_2)
	v_sub_nc_u16 v1, v28, v1
	v_mul_u32_u24_e32 v27, 0x268, v27
	s_delay_alu instid0(VALU_DEP_2) | instskip(NEXT) | instid1(VALU_DEP_1)
	v_and_b32_e32 v26, 0xff, v1
	v_mul_u32_u24_e32 v1, 6, v26
	s_delay_alu instid0(VALU_DEP_1)
	v_lshlrev_b32_e32 v1, 3, v1
	s_clause 0x2
	global_load_b128 v[4:7], v1, s[8:9]
	global_load_b128 v[8:11], v1, s[8:9] offset:16
	global_load_b128 v[12:15], v1, s[8:9] offset:32
	ds_load_2addr_b64 v[22:25], v20 offset1:88
	v_lshlrev_b32_e32 v26, 3, v26
	s_delay_alu instid0(VALU_DEP_1) | instskip(SKIP_3) | instid1(VALU_DEP_2)
	v_add3_u32 v26, 0, v27, v26
	s_wait_loadcnt_dscnt 0x200
	v_mul_f32_e32 v27, v5, v25
	v_mul_f32_e32 v5, v5, v24
	v_fma_f32 v24, v4, v24, -v27
	s_delay_alu instid0(VALU_DEP_2)
	v_fmac_f32_e32 v5, v4, v25
	v_add_nc_u32_e32 v1, 0x400, v20
	ds_load_2addr_b64 v[29:32], v1 offset0:48 offset1:136
	s_wait_loadcnt_dscnt 0x100
	v_dual_mul_f32 v37, v7, v30 :: v_dual_mul_f32 v38, v9, v32
	v_mul_f32_e32 v7, v7, v29
	s_delay_alu instid0(VALU_DEP_2)
	v_fma_f32 v4, v6, v29, -v37
	v_add_nc_u32_e32 v21, 0x800, v20
	ds_load_2addr_b64 v[33:36], v21 offset0:96 offset1:184
	ds_load_b64 v[0:1], v20 offset:4224
	global_wb scope:SCOPE_SE
	s_wait_loadcnt_dscnt 0x0
	s_barrier_signal -1
	s_barrier_wait -1
	global_inv scope:SCOPE_SE
	v_dual_mul_f32 v40, v13, v36 :: v_dual_mul_f32 v41, v15, v1
	v_mul_f32_e32 v15, v15, v0
	v_mul_f32_e32 v39, v11, v34
	s_delay_alu instid0(VALU_DEP_3) | instskip(SKIP_1) | instid1(VALU_DEP_4)
	v_fma_f32 v0, v14, v0, -v41
	v_mul_f32_e32 v9, v9, v31
	v_fmac_f32_e32 v15, v14, v1
	v_fma_f32 v1, v12, v35, -v40
	s_delay_alu instid0(VALU_DEP_1) | instskip(SKIP_3) | instid1(VALU_DEP_1)
	v_add_f32_e32 v14, v4, v1
	v_sub_f32_e32 v1, v4, v1
	v_fmac_f32_e32 v9, v8, v32
	v_mul_f32_e32 v13, v13, v35
	v_dual_fmac_f32 v13, v12, v36 :: v_dual_add_f32 v12, v5, v15
	v_sub_f32_e32 v5, v5, v15
	v_fmac_f32_e32 v7, v6, v30
	v_fma_f32 v6, v8, v31, -v38
	v_fma_f32 v8, v10, v33, -v39
	v_mul_f32_e32 v11, v11, v33
	s_delay_alu instid0(VALU_DEP_4) | instskip(NEXT) | instid1(VALU_DEP_3)
	v_add_f32_e32 v15, v7, v13
	v_dual_sub_f32 v4, v7, v13 :: v_dual_add_f32 v7, v6, v8
	v_sub_f32_e32 v6, v8, v6
	s_delay_alu instid0(VALU_DEP_4) | instskip(NEXT) | instid1(VALU_DEP_2)
	v_dual_fmac_f32 v11, v10, v34 :: v_dual_add_f32 v10, v24, v0
	v_dual_sub_f32 v0, v24, v0 :: v_dual_add_f32 v27, v6, v1
	v_sub_f32_e32 v30, v6, v1
	s_delay_alu instid0(VALU_DEP_3) | instskip(NEXT) | instid1(VALU_DEP_3)
	v_sub_f32_e32 v24, v14, v10
	v_dual_sub_f32 v6, v0, v6 :: v_dual_sub_f32 v1, v1, v0
	s_delay_alu instid0(VALU_DEP_4) | instskip(SKIP_3) | instid1(VALU_DEP_3)
	v_add_f32_e32 v0, v27, v0
	v_dual_sub_f32 v32, v4, v5 :: v_dual_add_f32 v13, v9, v11
	v_dual_sub_f32 v8, v11, v9 :: v_dual_add_f32 v9, v14, v10
	v_sub_f32_e32 v10, v10, v7
	v_dual_sub_f32 v14, v7, v14 :: v_dual_mul_f32 v33, 0x3f5ff5aa, v32
	s_delay_alu instid0(VALU_DEP_3) | instskip(NEXT) | instid1(VALU_DEP_3)
	v_add_f32_e32 v29, v8, v4
	v_dual_add_f32 v7, v7, v9 :: v_dual_mul_f32 v10, 0x3f4a47b2, v10
	v_add_f32_e32 v11, v15, v12
	v_sub_f32_e32 v31, v8, v4
	v_sub_f32_e32 v8, v5, v8
	s_delay_alu instid0(VALU_DEP_3) | instskip(SKIP_4) | instid1(VALU_DEP_3)
	v_dual_add_f32 v4, v7, v22 :: v_dual_add_f32 v9, v13, v11
	v_add_f32_e32 v11, v29, v5
	v_dual_sub_f32 v25, v15, v12 :: v_dual_sub_f32 v12, v12, v13
	v_dual_mul_f32 v29, 0xbf08b237, v30 :: v_dual_mul_f32 v30, 0xbf08b237, v31
	v_mul_f32_e32 v31, 0x3f5ff5aa, v1
	v_dual_add_f32 v5, v9, v23 :: v_dual_mul_f32 v12, 0x3f4a47b2, v12
	v_sub_f32_e32 v15, v13, v15
	v_mul_f32_e32 v13, 0x3d64c772, v14
	v_fmamk_f32 v23, v6, 0x3eae86e6, v29
	v_fma_f32 v1, 0x3f5ff5aa, v1, -v29
	v_fma_f32 v29, 0xbeae86e6, v8, -v33
	v_fmamk_f32 v14, v14, 0x3d64c772, v10
	v_fma_f32 v13, 0x3f3bfb3b, v24, -v13
	v_fma_f32 v10, 0xbf3bfb3b, v24, -v10
	v_fmamk_f32 v24, v8, 0x3eae86e6, v30
	v_fmac_f32_e32 v29, 0x3ee1c552, v11
	v_mul_f32_e32 v27, 0x3d64c772, v15
	v_fmac_f32_e32 v23, 0x3ee1c552, v0
	s_delay_alu instid0(VALU_DEP_4) | instskip(NEXT) | instid1(VALU_DEP_3)
	v_dual_fmac_f32 v1, 0x3ee1c552, v0 :: v_dual_fmac_f32 v24, 0x3ee1c552, v11
	v_fma_f32 v22, 0x3f3bfb3b, v25, -v27
	v_fma_f32 v27, 0xbeae86e6, v6, -v31
	v_fmamk_f32 v6, v7, 0xbf955555, v4
	s_delay_alu instid0(VALU_DEP_1)
	v_dual_fmac_f32 v27, 0x3ee1c552, v0 :: v_dual_add_f32 v0, v14, v6
	v_fmamk_f32 v15, v15, 0x3d64c772, v12
	v_fma_f32 v12, 0xbf3bfb3b, v25, -v12
	v_fma_f32 v25, 0x3f5ff5aa, v32, -v30
	v_add_f32_e32 v13, v13, v6
	v_add_f32_e32 v14, v10, v6
	;; [unrolled: 1-line block ×3, first 2 shown]
	v_dual_sub_f32 v0, v0, v24 :: v_dual_fmamk_f32 v7, v9, 0xbf955555, v5
	s_delay_alu instid0(VALU_DEP_3) | instskip(SKIP_1) | instid1(VALU_DEP_3)
	v_dual_fmac_f32 v25, 0x3ee1c552, v11 :: v_dual_add_f32 v8, v29, v14
	v_sub_f32_e32 v14, v14, v29
	v_add_f32_e32 v30, v15, v7
	v_add_f32_e32 v15, v12, v7
	;; [unrolled: 1-line block ×3, first 2 shown]
	v_sub_f32_e32 v10, v13, v25
	s_delay_alu instid0(VALU_DEP_4) | instskip(NEXT) | instid1(VALU_DEP_4)
	v_dual_add_f32 v12, v25, v13 :: v_dual_sub_f32 v7, v30, v23
	v_sub_f32_e32 v9, v15, v27
	s_delay_alu instid0(VALU_DEP_4)
	v_add_f32_e32 v11, v1, v22
	v_sub_f32_e32 v13, v22, v1
	v_add_f32_e32 v15, v27, v15
	v_add_f32_e32 v1, v23, v30
	ds_store_2addr_b64 v26, v[4:5], v[6:7] offset1:11
	ds_store_2addr_b64 v26, v[8:9], v[10:11] offset0:22 offset1:33
	ds_store_2addr_b64 v26, v[12:13], v[14:15] offset0:44 offset1:55
	ds_store_b64 v26, v[0:1] offset:528
	global_wb scope:SCOPE_SE
	s_wait_dscnt 0x0
	s_barrier_signal -1
	s_barrier_wait -1
	global_inv scope:SCOPE_SE
	s_and_saveexec_b32 s1, s0
	s_cbranch_execnz .LBB0_16
; %bb.14:
	s_wait_alu 0xfffe
	s_or_b32 exec_lo, exec_lo, s1
	s_and_b32 s0, vcc_lo, s0
	s_wait_alu 0xfffe
	s_and_saveexec_b32 s1, s0
	s_cbranch_execnz .LBB0_17
.LBB0_15:
	s_endpgm
.LBB0_16:
	v_add_nc_u32_e32 v0, 0xc00, v20
	ds_load_2addr_b64 v[4:7], v20 offset1:77
	ds_load_2addr_b64 v[8:11], v20 offset0:154 offset1:231
	ds_load_2addr_b64 v[12:15], v21 offset0:52 offset1:129
	;; [unrolled: 1-line block ×3, first 2 shown]
	s_wait_alu 0xfffe
	s_or_b32 exec_lo, exec_lo, s1
	s_and_b32 s0, vcc_lo, s0
	s_wait_alu 0xfffe
	s_and_saveexec_b32 s1, s0
	s_cbranch_execz .LBB0_15
.LBB0_17:
	v_add_nc_u32_e32 v54, 0x9a, v28
	v_add_nc_u32_e32 v56, 0x134, v28
	v_mul_u32_u24_e32 v20, 7, v28
	v_mad_co_u64_u32 v[35:36], null, s16, v28, 0
	s_delay_alu instid0(VALU_DEP_4) | instskip(SKIP_4) | instid1(VALU_DEP_4)
	v_mad_co_u64_u32 v[39:40], null, s16, v54, 0
	v_add_nc_u32_e32 v53, 0x4d, v28
	v_mad_co_u64_u32 v[43:44], null, s16, v56, 0
	v_add_nc_u32_e32 v57, 0x181, v28
	v_add_nc_u32_e32 v55, 0xe7, v28
	v_mad_co_u64_u32 v[37:38], null, s16, v53, 0
	v_lshlrev_b32_e32 v33, 3, v20
	v_add_nc_u32_e32 v58, 0x1ce, v28
	s_delay_alu instid0(VALU_DEP_4)
	v_mad_co_u64_u32 v[41:42], null, s16, v55, 0
	v_mul_lo_u32 v49, s3, v18
	v_mul_lo_u32 v50, s2, v19
	v_mad_co_u64_u32 v[51:52], null, s17, v28, v[36:37]
	v_mov_b32_e32 v36, v40
	v_mov_b32_e32 v40, v44
	v_mad_co_u64_u32 v[45:46], null, s16, v57, 0
	v_dual_mov_b32 v28, v38 :: v_dual_add_nc_u32 v59, 0x21b, v28
	s_clause 0x3
	global_load_b128 v[20:23], v33, s[8:9] offset:528
	global_load_b128 v[24:27], v33, s[8:9] offset:560
	;; [unrolled: 1-line block ×3, first 2 shown]
	global_load_b64 v[33:34], v33, s[8:9] offset:576
	v_mad_co_u64_u32 v[18:19], null, s2, v18, 0
	v_mov_b32_e32 v38, v42
	v_mov_b32_e32 v42, v46
	v_lshlrev_b64_e32 v[16:17], 3, v[16:17]
	s_delay_alu instid0(VALU_DEP_4) | instskip(SKIP_1) | instid1(VALU_DEP_2)
	v_add3_u32 v19, v19, v50, v49
	v_mad_co_u64_u32 v[49:50], null, s16, v59, 0
	v_lshlrev_b64_e32 v[18:19], 3, v[18:19]
	s_delay_alu instid0(VALU_DEP_2) | instskip(NEXT) | instid1(VALU_DEP_2)
	v_mov_b32_e32 v46, v50
	v_add_co_u32 v18, vcc_lo, s6, v18
	s_wait_alu 0xfffd
	s_delay_alu instid0(VALU_DEP_3)
	v_add_co_ci_u32_e32 v19, vcc_lo, s7, v19, vcc_lo
	s_wait_loadcnt 0x1
	v_mad_co_u64_u32 v[52:53], null, s17, v53, v[28:29]
	v_mad_co_u64_u32 v[53:54], null, s17, v54, v[36:37]
	;; [unrolled: 1-line block ×5, first 2 shown]
	s_wait_dscnt 0x2
	s_delay_alu instid0(VALU_DEP_4)
	v_dual_mov_b32 v40, v53 :: v_dual_mul_f32 v53, v11, v29
	v_mad_co_u64_u32 v[47:48], null, s16, v58, 0
	v_dual_mul_f32 v11, v11, v30 :: v_dual_mov_b32 v42, v54
	s_wait_loadcnt_dscnt 0x0
	v_mul_f32_e32 v54, v3, v33
	v_dual_mul_f32 v3, v3, v34 :: v_dual_mov_b32 v38, v52
	v_add_co_u32 v28, vcc_lo, v18, v16
	v_mov_b32_e32 v44, v48
	v_mov_b32_e32 v36, v51
	s_wait_alu 0xfffd
	v_add_co_ci_u32_e32 v51, vcc_lo, v19, v17, vcc_lo
	v_mul_f32_e32 v52, v15, v25
	v_mad_co_u64_u32 v[57:58], null, s17, v58, v[44:45]
	v_mad_co_u64_u32 v[58:59], null, s17, v59, v[46:47]
	v_dual_mov_b32 v46, v56 :: v_dual_fmac_f32 v53, v10, v30
	v_dual_mov_b32 v44, v55 :: v_dual_mul_f32 v25, v14, v25
	v_lshlrev_b64_e32 v[18:19], 3, v[37:38]
	v_lshlrev_b64_e32 v[37:38], 3, v[41:42]
	v_mov_b32_e32 v50, v58
	v_lshlrev_b64_e32 v[41:42], 3, v[45:46]
	v_fmac_f32_e32 v25, v15, v24
	v_fma_f32 v10, v10, v29, -v11
	s_delay_alu instid0(VALU_DEP_4)
	v_lshlrev_b64_e32 v[45:46], 3, v[49:50]
	v_mul_f32_e32 v49, v13, v31
	v_mov_b32_e32 v48, v57
	v_mul_f32_e32 v50, v7, v21
	v_mul_f32_e32 v21, v6, v21
	v_lshlrev_b64_e32 v[16:17], 3, v[35:36]
	v_lshlrev_b64_e32 v[35:36], 3, v[39:40]
	;; [unrolled: 1-line block ×3, first 2 shown]
	v_fmac_f32_e32 v49, v12, v32
	v_lshlrev_b64_e32 v[43:44], 3, v[47:48]
	v_mul_f32_e32 v47, v9, v23
	v_mul_f32_e32 v48, v1, v27
	;; [unrolled: 1-line block ×5, first 2 shown]
	v_fma_f32 v8, v8, v22, -v47
	v_fma_f32 v0, v0, v26, -v48
	v_fmac_f32_e32 v21, v7, v20
	v_fmac_f32_e32 v23, v9, v22
	v_fma_f32 v6, v6, v20, -v50
	v_fmac_f32_e32 v27, v1, v26
	v_fma_f32 v14, v14, v24, -v52
	v_dual_sub_f32 v7, v8, v0 :: v_dual_fmac_f32 v54, v2, v34
	v_sub_f32_e32 v9, v5, v49
	v_fma_f32 v2, v2, v33, -v3
	v_fma_f32 v3, v12, v31, -v13
	v_sub_f32_e32 v11, v6, v14
	v_sub_f32_e32 v12, v53, v54
	s_delay_alu instid0(VALU_DEP_4) | instskip(NEXT) | instid1(VALU_DEP_4)
	v_dual_sub_f32 v13, v21, v25 :: v_dual_sub_f32 v2, v10, v2
	v_sub_f32_e32 v14, v4, v3
	v_sub_f32_e32 v3, v23, v27
	v_add_f32_e32 v15, v7, v9
	v_fma_f32 v25, v5, 2.0, -v9
	v_add_f32_e32 v22, v13, v2
	v_sub_f32_e32 v20, v11, v12
	v_fma_f32 v5, v23, 2.0, -v3
	v_fma_f32 v23, v6, 2.0, -v11
	;; [unrolled: 1-line block ×3, first 2 shown]
	v_sub_f32_e32 v24, v14, v3
	v_fma_f32 v10, v4, 2.0, -v14
	v_fma_f32 v4, v8, 2.0, -v7
	;; [unrolled: 1-line block ×3, first 2 shown]
	v_sub_f32_e32 v21, v23, v6
	v_fma_f32 v7, v53, 2.0, -v12
	v_add_co_u32 v16, vcc_lo, v28, v16
	s_wait_alu 0xfffd
	v_add_co_ci_u32_e32 v17, vcc_lo, v51, v17, vcc_lo
	v_add_co_u32 v18, vcc_lo, v28, v18
	v_dual_fmamk_f32 v3, v22, 0x3f3504f3, v15 :: v_dual_fmamk_f32 v2, v20, 0x3f3504f3, v24
	v_dual_sub_f32 v12, v25, v5 :: v_dual_sub_f32 v27, v8, v7
	v_sub_f32_e32 v26, v10, v4
	v_fma_f32 v30, v11, 2.0, -v20
	v_fma_f32 v14, v14, 2.0, -v24
	s_delay_alu instid0(VALU_DEP_4)
	v_add_f32_e32 v5, v12, v21
	v_fma_f32 v29, v9, 2.0, -v15
	v_fma_f32 v13, v13, 2.0, -v22
	s_wait_alu 0xfffd
	v_add_co_ci_u32_e32 v19, vcc_lo, v51, v19, vcc_lo
	v_add_co_u32 v35, vcc_lo, v28, v35
	s_wait_alu 0xfffd
	v_add_co_ci_u32_e32 v36, vcc_lo, v51, v36, vcc_lo
	v_fmac_f32_e32 v3, 0x3f3504f3, v20
	v_dual_fmac_f32 v2, 0xbf3504f3, v22 :: v_dual_fmamk_f32 v7, v13, 0xbf3504f3, v29
	v_fma_f32 v20, v25, 2.0, -v12
	v_fma_f32 v22, v8, 2.0, -v27
	v_fmamk_f32 v6, v30, 0xbf3504f3, v14
	v_fma_f32 v25, v10, 2.0, -v26
	v_fma_f32 v10, v23, 2.0, -v21
	v_add_co_u32 v37, vcc_lo, v28, v37
	s_wait_alu 0xfffd
	v_add_co_ci_u32_e32 v38, vcc_lo, v51, v38, vcc_lo
	v_add_co_u32 v39, vcc_lo, v28, v39
	v_fma_f32 v11, v12, 2.0, -v5
	v_dual_fmac_f32 v6, 0xbf3504f3, v13 :: v_dual_sub_f32 v13, v20, v22
	v_sub_f32_e32 v12, v25, v10
	s_wait_alu 0xfffd
	v_add_co_ci_u32_e32 v40, vcc_lo, v51, v40, vcc_lo
	v_dual_sub_f32 v4, v26, v27 :: v_dual_fmac_f32 v7, 0x3f3504f3, v30
	v_add_co_u32 v41, vcc_lo, v28, v41
	s_wait_alu 0xfffd
	v_add_co_ci_u32_e32 v42, vcc_lo, v51, v42, vcc_lo
	v_add_co_u32 v0, vcc_lo, v28, v43
	v_fma_f32 v21, v20, 2.0, -v13
	v_fma_f32 v20, v25, 2.0, -v12
	;; [unrolled: 1-line block ×5, first 2 shown]
	s_wait_alu 0xfffd
	v_add_co_ci_u32_e32 v1, vcc_lo, v51, v44, vcc_lo
	v_fma_f32 v10, v26, 2.0, -v4
	v_fma_f32 v8, v24, 2.0, -v2
	v_add_co_u32 v22, vcc_lo, v28, v45
	s_wait_alu 0xfffd
	v_add_co_ci_u32_e32 v23, vcc_lo, v51, v46, vcc_lo
	s_clause 0x7
	global_store_b64 v[16:17], v[20:21], off
	global_store_b64 v[18:19], v[14:15], off
	;; [unrolled: 1-line block ×8, first 2 shown]
	s_nop 0
	s_sendmsg sendmsg(MSG_DEALLOC_VGPRS)
	s_endpgm
	.section	.rodata,"a",@progbits
	.p2align	6, 0x0
	.amdhsa_kernel fft_rtc_fwd_len616_factors_11_7_8_wgs_88_tpt_88_sp_op_CI_CI_sbrr_dirReg
		.amdhsa_group_segment_fixed_size 0
		.amdhsa_private_segment_fixed_size 0
		.amdhsa_kernarg_size 104
		.amdhsa_user_sgpr_count 2
		.amdhsa_user_sgpr_dispatch_ptr 0
		.amdhsa_user_sgpr_queue_ptr 0
		.amdhsa_user_sgpr_kernarg_segment_ptr 1
		.amdhsa_user_sgpr_dispatch_id 0
		.amdhsa_user_sgpr_private_segment_size 0
		.amdhsa_wavefront_size32 1
		.amdhsa_uses_dynamic_stack 0
		.amdhsa_enable_private_segment 0
		.amdhsa_system_sgpr_workgroup_id_x 1
		.amdhsa_system_sgpr_workgroup_id_y 0
		.amdhsa_system_sgpr_workgroup_id_z 0
		.amdhsa_system_sgpr_workgroup_info 0
		.amdhsa_system_vgpr_workitem_id 0
		.amdhsa_next_free_vgpr 84
		.amdhsa_next_free_sgpr 43
		.amdhsa_reserve_vcc 1
		.amdhsa_float_round_mode_32 0
		.amdhsa_float_round_mode_16_64 0
		.amdhsa_float_denorm_mode_32 3
		.amdhsa_float_denorm_mode_16_64 3
		.amdhsa_fp16_overflow 0
		.amdhsa_workgroup_processor_mode 1
		.amdhsa_memory_ordered 1
		.amdhsa_forward_progress 0
		.amdhsa_round_robin_scheduling 0
		.amdhsa_exception_fp_ieee_invalid_op 0
		.amdhsa_exception_fp_denorm_src 0
		.amdhsa_exception_fp_ieee_div_zero 0
		.amdhsa_exception_fp_ieee_overflow 0
		.amdhsa_exception_fp_ieee_underflow 0
		.amdhsa_exception_fp_ieee_inexact 0
		.amdhsa_exception_int_div_zero 0
	.end_amdhsa_kernel
	.text
.Lfunc_end0:
	.size	fft_rtc_fwd_len616_factors_11_7_8_wgs_88_tpt_88_sp_op_CI_CI_sbrr_dirReg, .Lfunc_end0-fft_rtc_fwd_len616_factors_11_7_8_wgs_88_tpt_88_sp_op_CI_CI_sbrr_dirReg
                                        ; -- End function
	.section	.AMDGPU.csdata,"",@progbits
; Kernel info:
; codeLenInByte = 6716
; NumSgprs: 45
; NumVgprs: 84
; ScratchSize: 0
; MemoryBound: 0
; FloatMode: 240
; IeeeMode: 1
; LDSByteSize: 0 bytes/workgroup (compile time only)
; SGPRBlocks: 5
; VGPRBlocks: 10
; NumSGPRsForWavesPerEU: 45
; NumVGPRsForWavesPerEU: 84
; Occupancy: 16
; WaveLimiterHint : 1
; COMPUTE_PGM_RSRC2:SCRATCH_EN: 0
; COMPUTE_PGM_RSRC2:USER_SGPR: 2
; COMPUTE_PGM_RSRC2:TRAP_HANDLER: 0
; COMPUTE_PGM_RSRC2:TGID_X_EN: 1
; COMPUTE_PGM_RSRC2:TGID_Y_EN: 0
; COMPUTE_PGM_RSRC2:TGID_Z_EN: 0
; COMPUTE_PGM_RSRC2:TIDIG_COMP_CNT: 0
	.text
	.p2alignl 7, 3214868480
	.fill 96, 4, 3214868480
	.type	__hip_cuid_272deacb606c0a46,@object ; @__hip_cuid_272deacb606c0a46
	.section	.bss,"aw",@nobits
	.globl	__hip_cuid_272deacb606c0a46
__hip_cuid_272deacb606c0a46:
	.byte	0                               ; 0x0
	.size	__hip_cuid_272deacb606c0a46, 1

	.ident	"AMD clang version 19.0.0git (https://github.com/RadeonOpenCompute/llvm-project roc-6.4.0 25133 c7fe45cf4b819c5991fe208aaa96edf142730f1d)"
	.section	".note.GNU-stack","",@progbits
	.addrsig
	.addrsig_sym __hip_cuid_272deacb606c0a46
	.amdgpu_metadata
---
amdhsa.kernels:
  - .args:
      - .actual_access:  read_only
        .address_space:  global
        .offset:         0
        .size:           8
        .value_kind:     global_buffer
      - .offset:         8
        .size:           8
        .value_kind:     by_value
      - .actual_access:  read_only
        .address_space:  global
        .offset:         16
        .size:           8
        .value_kind:     global_buffer
      - .actual_access:  read_only
        .address_space:  global
        .offset:         24
        .size:           8
        .value_kind:     global_buffer
      - .actual_access:  read_only
        .address_space:  global
        .offset:         32
        .size:           8
        .value_kind:     global_buffer
      - .offset:         40
        .size:           8
        .value_kind:     by_value
      - .actual_access:  read_only
        .address_space:  global
        .offset:         48
        .size:           8
        .value_kind:     global_buffer
      - .actual_access:  read_only
        .address_space:  global
        .offset:         56
        .size:           8
        .value_kind:     global_buffer
      - .offset:         64
        .size:           4
        .value_kind:     by_value
      - .actual_access:  read_only
        .address_space:  global
        .offset:         72
        .size:           8
        .value_kind:     global_buffer
      - .actual_access:  read_only
        .address_space:  global
        .offset:         80
        .size:           8
        .value_kind:     global_buffer
      - .actual_access:  read_only
        .address_space:  global
        .offset:         88
        .size:           8
        .value_kind:     global_buffer
      - .actual_access:  write_only
        .address_space:  global
        .offset:         96
        .size:           8
        .value_kind:     global_buffer
    .group_segment_fixed_size: 0
    .kernarg_segment_align: 8
    .kernarg_segment_size: 104
    .language:       OpenCL C
    .language_version:
      - 2
      - 0
    .max_flat_workgroup_size: 88
    .name:           fft_rtc_fwd_len616_factors_11_7_8_wgs_88_tpt_88_sp_op_CI_CI_sbrr_dirReg
    .private_segment_fixed_size: 0
    .sgpr_count:     45
    .sgpr_spill_count: 0
    .symbol:         fft_rtc_fwd_len616_factors_11_7_8_wgs_88_tpt_88_sp_op_CI_CI_sbrr_dirReg.kd
    .uniform_work_group_size: 1
    .uses_dynamic_stack: false
    .vgpr_count:     84
    .vgpr_spill_count: 0
    .wavefront_size: 32
    .workgroup_processor_mode: 1
amdhsa.target:   amdgcn-amd-amdhsa--gfx1201
amdhsa.version:
  - 1
  - 2
...

	.end_amdgpu_metadata
